;; amdgpu-corpus repo=ROCm/rocFFT kind=compiled arch=gfx906 opt=O3
	.text
	.amdgcn_target "amdgcn-amd-amdhsa--gfx906"
	.amdhsa_code_object_version 6
	.protected	fft_rtc_fwd_len270_factors_10_3_3_3_wgs_108_tpt_27_halfLds_dp_op_CI_CI_unitstride_sbrr_C2R_dirReg ; -- Begin function fft_rtc_fwd_len270_factors_10_3_3_3_wgs_108_tpt_27_halfLds_dp_op_CI_CI_unitstride_sbrr_C2R_dirReg
	.globl	fft_rtc_fwd_len270_factors_10_3_3_3_wgs_108_tpt_27_halfLds_dp_op_CI_CI_unitstride_sbrr_C2R_dirReg
	.p2align	8
	.type	fft_rtc_fwd_len270_factors_10_3_3_3_wgs_108_tpt_27_halfLds_dp_op_CI_CI_unitstride_sbrr_C2R_dirReg,@function
fft_rtc_fwd_len270_factors_10_3_3_3_wgs_108_tpt_27_halfLds_dp_op_CI_CI_unitstride_sbrr_C2R_dirReg: ; @fft_rtc_fwd_len270_factors_10_3_3_3_wgs_108_tpt_27_halfLds_dp_op_CI_CI_unitstride_sbrr_C2R_dirReg
; %bb.0:
	s_load_dwordx4 s[8:11], s[4:5], 0x58
	s_load_dwordx4 s[12:15], s[4:5], 0x0
	;; [unrolled: 1-line block ×3, first 2 shown]
	v_mul_u32_u24_e32 v1, 0x97c, v0
	v_lshrrev_b32_e32 v7, 16, v1
	v_mov_b32_e32 v3, 0
	s_waitcnt lgkmcnt(0)
	v_cmp_lt_u64_e64 s[0:1], s[14:15], 2
	v_mov_b32_e32 v1, 0
	v_lshl_add_u32 v5, s6, 2, v7
	v_mov_b32_e32 v6, v3
	s_and_b64 vcc, exec, s[0:1]
	v_mov_b32_e32 v2, 0
	s_cbranch_vccnz .LBB0_8
; %bb.1:
	s_load_dwordx2 s[0:1], s[4:5], 0x10
	s_add_u32 s2, s18, 8
	s_addc_u32 s3, s19, 0
	s_add_u32 s6, s16, 8
	v_mov_b32_e32 v1, 0
	s_addc_u32 s7, s17, 0
	v_mov_b32_e32 v2, 0
	s_waitcnt lgkmcnt(0)
	s_add_u32 s20, s0, 8
	v_mov_b32_e32 v49, v2
	s_addc_u32 s21, s1, 0
	s_mov_b64 s[22:23], 1
	v_mov_b32_e32 v48, v1
.LBB0_2:                                ; =>This Inner Loop Header: Depth=1
	s_load_dwordx2 s[24:25], s[20:21], 0x0
                                        ; implicit-def: $vgpr50_vgpr51
	s_waitcnt lgkmcnt(0)
	v_or_b32_e32 v4, s25, v6
	v_cmp_ne_u64_e32 vcc, 0, v[3:4]
	s_and_saveexec_b64 s[0:1], vcc
	s_xor_b64 s[26:27], exec, s[0:1]
	s_cbranch_execz .LBB0_4
; %bb.3:                                ;   in Loop: Header=BB0_2 Depth=1
	v_cvt_f32_u32_e32 v4, s24
	v_cvt_f32_u32_e32 v8, s25
	s_sub_u32 s0, 0, s24
	s_subb_u32 s1, 0, s25
	v_mac_f32_e32 v4, 0x4f800000, v8
	v_rcp_f32_e32 v4, v4
	v_mul_f32_e32 v4, 0x5f7ffffc, v4
	v_mul_f32_e32 v8, 0x2f800000, v4
	v_trunc_f32_e32 v8, v8
	v_mac_f32_e32 v4, 0xcf800000, v8
	v_cvt_u32_f32_e32 v8, v8
	v_cvt_u32_f32_e32 v4, v4
	v_mul_lo_u32 v9, s0, v8
	v_mul_hi_u32 v10, s0, v4
	v_mul_lo_u32 v12, s1, v4
	v_mul_lo_u32 v11, s0, v4
	v_add_u32_e32 v9, v10, v9
	v_add_u32_e32 v9, v9, v12
	v_mul_hi_u32 v10, v4, v11
	v_mul_lo_u32 v12, v4, v9
	v_mul_hi_u32 v14, v4, v9
	v_mul_hi_u32 v13, v8, v11
	v_mul_lo_u32 v11, v8, v11
	v_mul_hi_u32 v15, v8, v9
	v_add_co_u32_e32 v10, vcc, v10, v12
	v_addc_co_u32_e32 v12, vcc, 0, v14, vcc
	v_mul_lo_u32 v9, v8, v9
	v_add_co_u32_e32 v10, vcc, v10, v11
	v_addc_co_u32_e32 v10, vcc, v12, v13, vcc
	v_addc_co_u32_e32 v11, vcc, 0, v15, vcc
	v_add_co_u32_e32 v9, vcc, v10, v9
	v_addc_co_u32_e32 v10, vcc, 0, v11, vcc
	v_add_co_u32_e32 v4, vcc, v4, v9
	v_addc_co_u32_e32 v8, vcc, v8, v10, vcc
	v_mul_lo_u32 v9, s0, v8
	v_mul_hi_u32 v10, s0, v4
	v_mul_lo_u32 v11, s1, v4
	v_mul_lo_u32 v12, s0, v4
	v_add_u32_e32 v9, v10, v9
	v_add_u32_e32 v9, v9, v11
	v_mul_lo_u32 v13, v4, v9
	v_mul_hi_u32 v14, v4, v12
	v_mul_hi_u32 v15, v4, v9
	;; [unrolled: 1-line block ×3, first 2 shown]
	v_mul_lo_u32 v12, v8, v12
	v_mul_hi_u32 v10, v8, v9
	v_add_co_u32_e32 v13, vcc, v14, v13
	v_addc_co_u32_e32 v14, vcc, 0, v15, vcc
	v_mul_lo_u32 v9, v8, v9
	v_add_co_u32_e32 v12, vcc, v13, v12
	v_addc_co_u32_e32 v11, vcc, v14, v11, vcc
	v_addc_co_u32_e32 v10, vcc, 0, v10, vcc
	v_add_co_u32_e32 v9, vcc, v11, v9
	v_addc_co_u32_e32 v10, vcc, 0, v10, vcc
	v_add_co_u32_e32 v4, vcc, v4, v9
	v_addc_co_u32_e32 v10, vcc, v8, v10, vcc
	v_mad_u64_u32 v[8:9], s[0:1], v5, v10, 0
	v_mul_hi_u32 v11, v5, v4
	v_add_co_u32_e32 v12, vcc, v11, v8
	v_addc_co_u32_e32 v13, vcc, 0, v9, vcc
	v_mad_u64_u32 v[8:9], s[0:1], v6, v4, 0
	v_mad_u64_u32 v[10:11], s[0:1], v6, v10, 0
	v_add_co_u32_e32 v4, vcc, v12, v8
	v_addc_co_u32_e32 v4, vcc, v13, v9, vcc
	v_addc_co_u32_e32 v8, vcc, 0, v11, vcc
	v_add_co_u32_e32 v4, vcc, v4, v10
	v_addc_co_u32_e32 v10, vcc, 0, v8, vcc
	v_mul_lo_u32 v11, s25, v4
	v_mul_lo_u32 v12, s24, v10
	v_mad_u64_u32 v[8:9], s[0:1], s24, v4, 0
	v_add3_u32 v9, v9, v12, v11
	v_sub_u32_e32 v11, v6, v9
	v_mov_b32_e32 v12, s25
	v_sub_co_u32_e32 v8, vcc, v5, v8
	v_subb_co_u32_e64 v11, s[0:1], v11, v12, vcc
	v_subrev_co_u32_e64 v12, s[0:1], s24, v8
	v_subbrev_co_u32_e64 v11, s[0:1], 0, v11, s[0:1]
	v_cmp_le_u32_e64 s[0:1], s25, v11
	v_cndmask_b32_e64 v13, 0, -1, s[0:1]
	v_cmp_le_u32_e64 s[0:1], s24, v12
	v_cndmask_b32_e64 v12, 0, -1, s[0:1]
	v_cmp_eq_u32_e64 s[0:1], s25, v11
	v_cndmask_b32_e64 v11, v13, v12, s[0:1]
	v_add_co_u32_e64 v12, s[0:1], 2, v4
	v_addc_co_u32_e64 v13, s[0:1], 0, v10, s[0:1]
	v_add_co_u32_e64 v14, s[0:1], 1, v4
	v_addc_co_u32_e64 v15, s[0:1], 0, v10, s[0:1]
	v_subb_co_u32_e32 v9, vcc, v6, v9, vcc
	v_cmp_ne_u32_e64 s[0:1], 0, v11
	v_cmp_le_u32_e32 vcc, s25, v9
	v_cndmask_b32_e64 v11, v15, v13, s[0:1]
	v_cndmask_b32_e64 v13, 0, -1, vcc
	v_cmp_le_u32_e32 vcc, s24, v8
	v_cndmask_b32_e64 v8, 0, -1, vcc
	v_cmp_eq_u32_e32 vcc, s25, v9
	v_cndmask_b32_e32 v8, v13, v8, vcc
	v_cmp_ne_u32_e32 vcc, 0, v8
	v_cndmask_b32_e64 v8, v14, v12, s[0:1]
	v_cndmask_b32_e32 v51, v10, v11, vcc
	v_cndmask_b32_e32 v50, v4, v8, vcc
.LBB0_4:                                ;   in Loop: Header=BB0_2 Depth=1
	s_andn2_saveexec_b64 s[0:1], s[26:27]
	s_cbranch_execz .LBB0_6
; %bb.5:                                ;   in Loop: Header=BB0_2 Depth=1
	v_cvt_f32_u32_e32 v4, s24
	s_sub_i32 s26, 0, s24
	v_mov_b32_e32 v51, v3
	v_rcp_iflag_f32_e32 v4, v4
	v_mul_f32_e32 v4, 0x4f7ffffe, v4
	v_cvt_u32_f32_e32 v4, v4
	v_mul_lo_u32 v8, s26, v4
	v_mul_hi_u32 v8, v4, v8
	v_add_u32_e32 v4, v4, v8
	v_mul_hi_u32 v4, v5, v4
	v_mul_lo_u32 v8, v4, s24
	v_add_u32_e32 v9, 1, v4
	v_sub_u32_e32 v8, v5, v8
	v_subrev_u32_e32 v10, s24, v8
	v_cmp_le_u32_e32 vcc, s24, v8
	v_cndmask_b32_e32 v8, v8, v10, vcc
	v_cndmask_b32_e32 v4, v4, v9, vcc
	v_add_u32_e32 v9, 1, v4
	v_cmp_le_u32_e32 vcc, s24, v8
	v_cndmask_b32_e32 v50, v4, v9, vcc
.LBB0_6:                                ;   in Loop: Header=BB0_2 Depth=1
	s_or_b64 exec, exec, s[0:1]
	v_mul_lo_u32 v4, v51, s24
	v_mul_lo_u32 v10, v50, s25
	v_mad_u64_u32 v[8:9], s[0:1], v50, s24, 0
	s_load_dwordx2 s[0:1], s[6:7], 0x0
	s_load_dwordx2 s[24:25], s[2:3], 0x0
	v_add3_u32 v4, v9, v10, v4
	v_sub_co_u32_e32 v5, vcc, v5, v8
	v_subb_co_u32_e32 v4, vcc, v6, v4, vcc
	s_waitcnt lgkmcnt(0)
	v_mul_lo_u32 v6, s0, v4
	v_mul_lo_u32 v8, s1, v5
	v_mad_u64_u32 v[1:2], s[0:1], s0, v5, v[1:2]
	v_mul_lo_u32 v4, s24, v4
	v_mul_lo_u32 v9, s25, v5
	v_mad_u64_u32 v[48:49], s[0:1], s24, v5, v[48:49]
	s_add_u32 s22, s22, 1
	s_addc_u32 s23, s23, 0
	s_add_u32 s2, s2, 8
	v_add3_u32 v49, v9, v49, v4
	s_addc_u32 s3, s3, 0
	v_mov_b32_e32 v4, s14
	s_add_u32 s6, s6, 8
	v_mov_b32_e32 v5, s15
	s_addc_u32 s7, s7, 0
	v_cmp_ge_u64_e32 vcc, s[22:23], v[4:5]
	s_add_u32 s20, s20, 8
	v_add3_u32 v2, v8, v2, v6
	s_addc_u32 s21, s21, 0
	s_cbranch_vccnz .LBB0_9
; %bb.7:                                ;   in Loop: Header=BB0_2 Depth=1
	v_mov_b32_e32 v5, v50
	v_mov_b32_e32 v6, v51
	s_branch .LBB0_2
.LBB0_8:
	v_mov_b32_e32 v49, v2
	v_mov_b32_e32 v51, v6
	;; [unrolled: 1-line block ×4, first 2 shown]
.LBB0_9:
	s_load_dwordx2 s[2:3], s[4:5], 0x28
	s_lshl_b64 s[6:7], s[14:15], 3
	s_add_u32 s4, s18, s6
	s_addc_u32 s5, s19, s7
	v_and_b32_e32 v3, 3, v7
	s_waitcnt lgkmcnt(0)
	v_cmp_gt_u64_e64 s[0:1], s[2:3], v[50:51]
	v_cmp_le_u64_e32 vcc, s[2:3], v[50:51]
                                        ; implicit-def: $vgpr52
	s_and_saveexec_b64 s[2:3], vcc
	s_xor_b64 s[2:3], exec, s[2:3]
; %bb.10:
	s_mov_b32 s14, 0x97b425f
	v_mul_hi_u32 v1, v0, s14
	v_mul_u32_u24_e32 v1, 27, v1
	v_sub_u32_e32 v52, v0, v1
                                        ; implicit-def: $vgpr0
                                        ; implicit-def: $vgpr1_vgpr2
; %bb.11:
	s_or_saveexec_b64 s[2:3], s[2:3]
	s_load_dwordx2 s[4:5], s[4:5], 0x0
	v_mul_u32_u24_e32 v3, 0x10f, v3
	v_lshlrev_b32_e32 v56, 4, v3
	s_xor_b64 exec, exec, s[2:3]
	s_cbranch_execz .LBB0_15
; %bb.12:
	s_add_u32 s6, s16, s6
	s_addc_u32 s7, s17, s7
	s_load_dwordx2 s[6:7], s[6:7], 0x0
	s_mov_b32 s14, 0x97b425f
	v_mul_hi_u32 v6, v0, s14
	v_lshlrev_b64 v[1:2], 4, v[1:2]
	s_waitcnt lgkmcnt(0)
	v_mul_lo_u32 v7, s7, v50
	v_mul_lo_u32 v8, s6, v51
	v_mad_u64_u32 v[4:5], s[6:7], s6, v50, 0
	v_mul_u32_u24_e32 v6, 27, v6
	v_sub_u32_e32 v52, v0, v6
	v_add3_u32 v5, v5, v8, v7
	v_lshlrev_b64 v[4:5], 4, v[4:5]
	v_mov_b32_e32 v0, s9
	v_add_co_u32_e32 v4, vcc, s8, v4
	v_addc_co_u32_e32 v0, vcc, v0, v5, vcc
	v_add_co_u32_e32 v1, vcc, v4, v1
	v_addc_co_u32_e32 v0, vcc, v0, v2, vcc
	v_lshlrev_b32_e32 v2, 4, v52
	v_add_co_u32_e32 v44, vcc, v1, v2
	v_addc_co_u32_e32 v45, vcc, 0, v0, vcc
	global_load_dwordx4 v[4:7], v[44:45], off
	global_load_dwordx4 v[8:11], v[44:45], off offset:432
	global_load_dwordx4 v[12:15], v[44:45], off offset:864
	;; [unrolled: 1-line block ×9, first 2 shown]
	v_add3_u32 v2, 0, v56, v2
	v_cmp_eq_u32_e32 vcc, 26, v52
	s_waitcnt vmcnt(9)
	ds_write_b128 v2, v[4:7]
	s_waitcnt vmcnt(8)
	ds_write_b128 v2, v[8:11] offset:432
	s_waitcnt vmcnt(7)
	ds_write_b128 v2, v[12:15] offset:864
	;; [unrolled: 2-line block ×9, first 2 shown]
	s_and_saveexec_b64 s[6:7], vcc
	s_cbranch_execz .LBB0_14
; %bb.13:
	v_add_co_u32_e32 v4, vcc, 0x1000, v1
	v_addc_co_u32_e32 v5, vcc, 0, v0, vcc
	global_load_dwordx4 v[4:7], v[4:5], off offset:224
	v_mov_b32_e32 v52, 26
	s_waitcnt vmcnt(0)
	ds_write_b128 v2, v[4:7] offset:3904
.LBB0_14:
	s_or_b64 exec, exec, s[6:7]
.LBB0_15:
	s_or_b64 exec, exec, s[2:3]
	v_lshl_add_u32 v55, v3, 4, 0
	v_lshlrev_b32_e32 v0, 4, v52
	v_add_u32_e32 v58, v55, v0
	s_waitcnt lgkmcnt(0)
	s_barrier
	v_sub_u32_e32 v6, v55, v0
	ds_read_b64 v[2:3], v58
	ds_read_b64 v[4:5], v6 offset:4320
	s_add_u32 s7, s12, 0x1040
	s_addc_u32 s6, s13, 0
	v_cmp_ne_u32_e32 vcc, 0, v52
	s_waitcnt lgkmcnt(0)
	v_add_f64 v[0:1], v[2:3], v[4:5]
	v_add_f64 v[2:3], v[2:3], -v[4:5]
                                        ; implicit-def: $vgpr4_vgpr5
	s_and_saveexec_b64 s[2:3], vcc
	s_xor_b64 s[2:3], exec, s[2:3]
	s_cbranch_execz .LBB0_17
; %bb.16:
	v_mov_b32_e32 v53, 0
	v_lshlrev_b64 v[4:5], 4, v[52:53]
	v_mov_b32_e32 v7, s6
	v_add_co_u32_e32 v4, vcc, s7, v4
	v_addc_co_u32_e32 v5, vcc, v7, v5, vcc
	global_load_dwordx4 v[7:10], v[4:5], off
	ds_read_b64 v[4:5], v6 offset:4328
	ds_read_b64 v[11:12], v58 offset:8
	s_waitcnt lgkmcnt(0)
	v_add_f64 v[13:14], v[4:5], v[11:12]
	v_add_f64 v[4:5], v[11:12], -v[4:5]
	s_waitcnt vmcnt(0)
	v_fma_f64 v[11:12], v[2:3], v[9:10], v[0:1]
	v_fma_f64 v[15:16], v[13:14], v[9:10], v[4:5]
	v_fma_f64 v[0:1], -v[2:3], v[9:10], v[0:1]
	v_fma_f64 v[4:5], v[13:14], v[9:10], -v[4:5]
	v_fma_f64 v[9:10], -v[13:14], v[7:8], v[11:12]
	v_fma_f64 v[11:12], v[2:3], v[7:8], v[15:16]
	v_fma_f64 v[0:1], v[13:14], v[7:8], v[0:1]
	v_fma_f64 v[2:3], v[2:3], v[7:8], v[4:5]
	v_mov_b32_e32 v4, v52
	v_mov_b32_e32 v5, v53
	ds_write_b128 v58, v[9:12]
	ds_write_b128 v6, v[0:3] offset:4320
                                        ; implicit-def: $vgpr0_vgpr1
.LBB0_17:
	s_andn2_saveexec_b64 s[2:3], s[2:3]
	s_cbranch_execz .LBB0_19
; %bb.18:
	ds_write_b128 v58, v[0:3]
	ds_read_b128 v[0:3], v55 offset:2160
	v_mov_b32_e32 v4, 0
	v_mov_b32_e32 v5, 0
	s_waitcnt lgkmcnt(0)
	v_add_f64 v[0:1], v[0:1], v[0:1]
	v_mul_f64 v[2:3], v[2:3], -2.0
	ds_write_b128 v55, v[0:3] offset:2160
.LBB0_19:
	s_or_b64 exec, exec, s[2:3]
	ds_read_b128 v[0:3], v58 offset:432
	ds_read_b128 v[7:10], v6 offset:3888
	v_lshl_add_u32 v40, v52, 4, 0
	v_add_u32_e32 v57, v40, v56
	s_mov_b32 s14, 0x134454ff
	s_mov_b32 s15, 0x3fee6f0e
	s_waitcnt lgkmcnt(0)
	v_add_f64 v[11:12], v[0:1], v[7:8]
	v_add_f64 v[15:16], v[0:1], -v[7:8]
	v_lshlrev_b64 v[0:1], 4, v[4:5]
	v_add_f64 v[13:14], v[9:10], v[2:3]
	v_add_co_u32_e32 v4, vcc, s7, v0
	v_mov_b32_e32 v0, s6
	v_addc_co_u32_e32 v5, vcc, v0, v1, vcc
	v_add_f64 v[17:18], v[2:3], -v[9:10]
	global_load_dwordx4 v[0:3], v[4:5], off offset:432
	s_mov_b32 s7, 0xbfee6f0e
	s_mov_b32 s6, s14
	s_mov_b32 s16, 0x4755a5e
	s_mov_b32 s17, 0x3fe2cf23
	s_mov_b32 s9, 0xbfe2cf23
	s_mov_b32 s8, s16
	s_mov_b32 s2, 0x372fe950
	s_mov_b32 s3, 0x3fd3c6ef
	s_mov_b32 s18, 0x9b97f4a8
	s_mov_b32 s19, 0x3fe9e377
	v_cmp_gt_u32_e32 vcc, 9, v52
	s_waitcnt vmcnt(0)
	v_fma_f64 v[7:8], v[15:16], v[2:3], v[11:12]
	v_fma_f64 v[9:10], v[13:14], v[2:3], v[17:18]
	v_fma_f64 v[7:8], -v[13:14], v[0:1], v[7:8]
	v_fma_f64 v[9:10], v[15:16], v[0:1], v[9:10]
	ds_write_b128 v58, v[7:10] offset:432
	v_fma_f64 v[7:8], -v[15:16], v[2:3], v[11:12]
	v_fma_f64 v[2:3], v[13:14], v[2:3], -v[17:18]
	v_fma_f64 v[7:8], v[13:14], v[0:1], v[7:8]
	v_fma_f64 v[9:10], v[15:16], v[0:1], v[2:3]
	ds_write_b128 v6, v[7:10] offset:3888
	ds_read_b128 v[0:3], v58 offset:864
	ds_read_b128 v[7:10], v6 offset:3456
	s_waitcnt lgkmcnt(0)
	v_add_f64 v[11:12], v[0:1], v[7:8]
	v_add_f64 v[13:14], v[9:10], v[2:3]
	v_add_f64 v[15:16], v[0:1], -v[7:8]
	v_add_f64 v[17:18], v[2:3], -v[9:10]
	global_load_dwordx4 v[0:3], v[4:5], off offset:864
	s_waitcnt vmcnt(0)
	v_fma_f64 v[7:8], v[15:16], v[2:3], v[11:12]
	v_fma_f64 v[9:10], v[13:14], v[2:3], v[17:18]
	v_fma_f64 v[7:8], -v[13:14], v[0:1], v[7:8]
	v_fma_f64 v[9:10], v[15:16], v[0:1], v[9:10]
	ds_write_b128 v58, v[7:10] offset:864
	v_fma_f64 v[7:8], -v[15:16], v[2:3], v[11:12]
	v_fma_f64 v[2:3], v[13:14], v[2:3], -v[17:18]
	v_fma_f64 v[7:8], v[13:14], v[0:1], v[7:8]
	v_fma_f64 v[9:10], v[15:16], v[0:1], v[2:3]
	ds_write_b128 v6, v[7:10] offset:3456
	ds_read_b128 v[0:3], v58 offset:1296
	ds_read_b128 v[7:10], v6 offset:3024
	s_waitcnt lgkmcnt(0)
	v_add_f64 v[11:12], v[0:1], v[7:8]
	v_add_f64 v[13:14], v[9:10], v[2:3]
	v_add_f64 v[15:16], v[0:1], -v[7:8]
	v_add_f64 v[17:18], v[2:3], -v[9:10]
	global_load_dwordx4 v[0:3], v[4:5], off offset:1296
	;; [unrolled: 19-line block ×3, first 2 shown]
	s_waitcnt vmcnt(0)
	v_fma_f64 v[4:5], v[15:16], v[2:3], v[11:12]
	v_fma_f64 v[7:8], -v[13:14], v[0:1], v[4:5]
	v_fma_f64 v[4:5], v[13:14], v[2:3], v[17:18]
	v_fma_f64 v[9:10], v[15:16], v[0:1], v[4:5]
	v_fma_f64 v[4:5], -v[15:16], v[2:3], v[11:12]
	v_fma_f64 v[2:3], v[13:14], v[2:3], -v[17:18]
	ds_write_b128 v58, v[7:10] offset:1728
	v_fma_f64 v[7:8], v[13:14], v[0:1], v[4:5]
	v_fma_f64 v[9:10], v[15:16], v[0:1], v[2:3]
	ds_write_b128 v6, v[7:10] offset:2592
	s_waitcnt lgkmcnt(0)
	s_barrier
	s_barrier
	ds_read_b128 v[34:37], v58
	ds_read_b128 v[8:11], v57 offset:432
	ds_read_b128 v[41:44], v57 offset:864
	ds_read_b128 v[12:15], v57 offset:1296
	ds_read_b128 v[59:62], v57 offset:1728
	ds_read_b128 v[16:19], v57 offset:2160
	ds_read_b128 v[63:66], v57 offset:2592
	ds_read_b128 v[0:3], v57 offset:3024
	ds_read_b128 v[67:70], v57 offset:3456
	ds_read_b128 v[4:7], v57 offset:3888
	s_waitcnt lgkmcnt(5)
	v_add_f64 v[26:27], v[41:42], -v[59:60]
	s_waitcnt lgkmcnt(3)
	v_add_f64 v[22:23], v[59:60], v[63:64]
	v_add_f64 v[30:31], v[61:62], -v[65:66]
	s_waitcnt lgkmcnt(1)
	v_add_f64 v[28:29], v[43:44], -v[69:70]
	v_add_f64 v[32:33], v[67:68], -v[63:64]
	v_add_f64 v[20:21], v[34:35], v[41:42]
	v_add_f64 v[38:39], v[63:64], -v[67:68]
	v_add_f64 v[45:46], v[43:44], -v[61:62]
	;; [unrolled: 1-line block ×3, first 2 shown]
	v_fma_f64 v[24:25], v[22:23], -0.5, v[34:35]
	s_waitcnt lgkmcnt(0)
	s_barrier
	v_add_f64 v[26:27], v[26:27], v[32:33]
	v_add_f64 v[20:21], v[20:21], v[59:60]
	;; [unrolled: 1-line block ×3, first 2 shown]
	v_fma_f64 v[22:23], v[28:29], s[14:15], v[24:25]
	v_fma_f64 v[24:25], v[28:29], s[6:7], v[24:25]
	v_add_f64 v[53:54], v[65:66], -v[69:70]
	v_add_f64 v[20:21], v[20:21], v[63:64]
	v_fma_f64 v[22:23], v[30:31], s[16:17], v[22:23]
	v_fma_f64 v[24:25], v[30:31], s[8:9], v[24:25]
	v_add_f64 v[20:21], v[20:21], v[67:68]
	v_fma_f64 v[22:23], v[26:27], s[2:3], v[22:23]
	v_fma_f64 v[24:25], v[26:27], s[2:3], v[24:25]
	v_add_f64 v[26:27], v[41:42], v[67:68]
	v_fma_f64 v[32:33], v[26:27], -0.5, v[34:35]
	v_add_f64 v[34:35], v[59:60], -v[41:42]
	v_fma_f64 v[26:27], v[30:31], s[6:7], v[32:33]
	v_fma_f64 v[30:31], v[30:31], s[14:15], v[32:33]
	v_add_f64 v[34:35], v[34:35], v[38:39]
	v_add_f64 v[32:33], v[61:62], v[65:66]
	v_add_f64 v[38:39], v[41:42], -v[67:68]
	v_add_f64 v[41:42], v[59:60], -v[63:64]
	;; [unrolled: 1-line block ×4, first 2 shown]
	v_fma_f64 v[26:27], v[28:29], s[16:17], v[26:27]
	v_fma_f64 v[28:29], v[28:29], s[8:9], v[30:31]
	v_add_f64 v[30:31], v[36:37], v[43:44]
	v_fma_f64 v[26:27], v[34:35], s[2:3], v[26:27]
	v_fma_f64 v[28:29], v[34:35], s[2:3], v[28:29]
	v_fma_f64 v[34:35], v[32:33], -0.5, v[36:37]
	v_add_f64 v[30:31], v[30:31], v[61:62]
	v_fma_f64 v[32:33], v[38:39], s[6:7], v[34:35]
	v_fma_f64 v[34:35], v[38:39], s[14:15], v[34:35]
	v_add_f64 v[30:31], v[30:31], v[65:66]
	v_add_f64 v[65:66], v[0:1], -v[4:5]
	v_fma_f64 v[32:33], v[41:42], s[8:9], v[32:33]
	v_fma_f64 v[34:35], v[41:42], s[16:17], v[34:35]
	v_add_f64 v[30:31], v[30:31], v[69:70]
	v_fma_f64 v[32:33], v[45:46], s[2:3], v[32:33]
	v_fma_f64 v[34:35], v[45:46], s[2:3], v[34:35]
	v_add_f64 v[45:46], v[43:44], v[69:70]
	v_add_f64 v[43:44], v[61:62], -v[43:44]
	v_add_f64 v[61:62], v[12:13], -v[16:17]
	v_fma_f64 v[45:46], v[45:46], -0.5, v[36:37]
	v_add_f64 v[43:44], v[43:44], v[53:54]
	v_add_f64 v[61:62], v[61:62], v[63:64]
	v_add_f64 v[63:64], v[16:17], -v[12:13]
	v_fma_f64 v[36:37], v[41:42], s[14:15], v[45:46]
	v_fma_f64 v[41:42], v[41:42], s[6:7], v[45:46]
	v_add_f64 v[63:64], v[63:64], v[65:66]
	v_fma_f64 v[36:37], v[38:39], s[8:9], v[36:37]
	v_fma_f64 v[38:39], v[38:39], s[16:17], v[41:42]
	v_add_f64 v[41:42], v[8:9], v[12:13]
	;; [unrolled: 3-line block ×3, first 2 shown]
	v_add_f64 v[43:44], v[14:15], -v[6:7]
	v_add_f64 v[41:42], v[41:42], v[0:1]
	v_add_f64 v[45:46], v[41:42], v[4:5]
	;; [unrolled: 1-line block ×3, first 2 shown]
	v_add_f64 v[0:1], v[16:17], -v[0:1]
	v_add_f64 v[16:17], v[14:15], -v[18:19]
	v_fma_f64 v[41:42], v[41:42], -0.5, v[8:9]
	v_fma_f64 v[53:54], v[43:44], s[14:15], v[41:42]
	v_fma_f64 v[41:42], v[43:44], s[6:7], v[41:42]
	;; [unrolled: 1-line block ×6, first 2 shown]
	v_add_f64 v[41:42], v[12:13], v[4:5]
	v_add_f64 v[4:5], v[12:13], -v[4:5]
	v_fma_f64 v[8:9], v[41:42], -0.5, v[8:9]
	v_fma_f64 v[41:42], v[59:60], s[6:7], v[8:9]
	v_fma_f64 v[8:9], v[59:60], s[14:15], v[8:9]
	;; [unrolled: 1-line block ×6, first 2 shown]
	v_add_f64 v[8:9], v[10:11], v[14:15]
	v_add_f64 v[41:42], v[6:7], -v[2:3]
	v_add_f64 v[8:9], v[8:9], v[18:19]
	v_add_f64 v[16:17], v[16:17], v[41:42]
	;; [unrolled: 1-line block ×5, first 2 shown]
	v_add_f64 v[2:3], v[2:3], -v[6:7]
	v_fma_f64 v[8:9], v[8:9], -0.5, v[10:11]
	v_fma_f64 v[12:13], v[4:5], s[6:7], v[8:9]
	v_fma_f64 v[8:9], v[4:5], s[14:15], v[8:9]
	;; [unrolled: 1-line block ×6, first 2 shown]
	v_add_f64 v[8:9], v[14:15], v[6:7]
	v_add_f64 v[12:13], v[18:19], -v[14:15]
	v_mul_f64 v[18:19], v[65:66], s[6:7]
	v_fma_f64 v[8:9], v[8:9], -0.5, v[10:11]
	v_add_f64 v[2:3], v[12:13], v[2:3]
	v_fma_f64 v[10:11], v[0:1], s[14:15], v[8:9]
	v_fma_f64 v[0:1], v[0:1], s[6:7], v[8:9]
	;; [unrolled: 1-line block ×4, first 2 shown]
	v_add_f64 v[4:5], v[20:21], v[45:46]
	v_add_f64 v[20:21], v[20:21], -v[45:46]
	v_fma_f64 v[14:15], v[2:3], s[2:3], v[10:11]
	v_fma_f64 v[0:1], v[2:3], s[2:3], v[0:1]
	v_mul_f64 v[2:3], v[53:54], s[18:19]
	v_mul_f64 v[10:11], v[53:54], s[8:9]
	;; [unrolled: 1-line block ×3, first 2 shown]
	v_fma_f64 v[75:76], v[14:15], s[2:3], v[18:19]
	v_fma_f64 v[2:3], v[63:64], s[16:17], v[2:3]
	;; [unrolled: 1-line block ×4, first 2 shown]
	v_mul_f64 v[6:7], v[43:44], s[2:3]
	v_add_f64 v[8:9], v[22:23], v[2:3]
	v_add_f64 v[10:11], v[32:33], v[53:54]
	;; [unrolled: 1-line block ×3, first 2 shown]
	v_add_f64 v[64:65], v[32:33], -v[53:54]
	v_add_f64 v[12:13], v[26:27], v[69:70]
	v_fma_f64 v[71:72], v[0:1], s[14:15], -v[6:7]
	v_mul_f64 v[0:1], v[0:1], s[2:3]
	v_mul_f64 v[6:7], v[61:62], s[18:19]
	s_movk_i32 s2, 0x90
	v_add_f64 v[26:27], v[26:27], -v[69:70]
	v_add_f64 v[16:17], v[28:29], v[71:72]
	v_fma_f64 v[77:78], v[43:44], s[6:7], -v[0:1]
	v_mul_f64 v[0:1], v[67:68], s[18:19]
	v_fma_f64 v[73:74], v[67:68], s[16:17], -v[6:7]
	v_add_f64 v[6:7], v[30:31], v[59:60]
	v_add_f64 v[66:67], v[28:29], -v[71:72]
	v_add_f64 v[28:29], v[36:37], -v[75:76]
	v_add_f64 v[18:19], v[38:39], v[77:78]
	v_fma_f64 v[79:80], v[61:62], s[8:9], -v[0:1]
	v_add_f64 v[41:42], v[24:25], v[73:74]
	v_add_f64 v[62:63], v[22:23], -v[2:3]
	v_add_f64 v[22:23], v[30:31], -v[59:60]
	v_mad_u32_u24 v61, v52, s2, v40
	v_add_f64 v[0:1], v[24:25], -v[73:74]
	v_add_u32_e32 v24, v61, v56
	v_add_f64 v[68:69], v[38:39], -v[77:78]
	v_add_f64 v[43:44], v[34:35], v[79:80]
	v_add_f64 v[2:3], v[34:35], -v[79:80]
	ds_write_b128 v24, v[4:7]
	ds_write_b128 v24, v[8:11] offset:16
	ds_write_b128 v24, v[12:15] offset:32
	ds_write_b128 v24, v[16:19] offset:48
	ds_write_b128 v24, v[41:44] offset:64
	ds_write_b128 v24, v[20:23] offset:80
	ds_write_b128 v24, v[62:65] offset:96
	ds_write_b128 v24, v[26:29] offset:112
	ds_write_b128 v24, v[66:69] offset:128
	ds_write_b128 v24, v[0:3] offset:144
	s_waitcnt lgkmcnt(0)
	s_barrier
	ds_read_b128 v[12:15], v58
	ds_read_b128 v[44:47], v57 offset:1440
	ds_read_b128 v[40:43], v57 offset:2880
	;; [unrolled: 1-line block ×8, first 2 shown]
                                        ; implicit-def: $vgpr22_vgpr23
                                        ; implicit-def: $vgpr18_vgpr19
	s_and_saveexec_b64 s[2:3], vcc
	s_cbranch_execz .LBB0_21
; %bb.20:
	ds_read_b128 v[0:3], v57 offset:1296
	ds_read_b128 v[16:19], v57 offset:2736
	;; [unrolled: 1-line block ×3, first 2 shown]
.LBB0_21:
	s_or_b64 exec, exec, s[2:3]
	s_movk_i32 s2, 0xcd
	v_mul_lo_u16_sdwa v53, v52, s2 dst_sel:DWORD dst_unused:UNUSED_PAD src0_sel:BYTE_0 src1_sel:DWORD
	v_lshrrev_b16_e32 v87, 11, v53
	v_mul_lo_u16_e32 v53, 10, v87
	v_sub_u16_e32 v88, v52, v53
	v_mov_b32_e32 v79, 5
	v_lshlrev_b32_sdwa v53, v79, v88 dst_sel:DWORD dst_unused:UNUSED_PAD src0_sel:DWORD src1_sel:BYTE_0
	global_load_dwordx4 v[63:66], v53, s[12:13] offset:16
	global_load_dwordx4 v[67:70], v53, s[12:13]
	v_add_u32_e32 v62, 27, v52
	v_add_u32_e32 v60, 54, v52
	;; [unrolled: 1-line block ×3, first 2 shown]
	s_mov_b32 s7, 0xbfebb67a
	s_waitcnt vmcnt(0) lgkmcnt(7)
	v_mul_f64 v[53:54], v[46:47], v[69:70]
	v_fma_f64 v[53:54], v[44:45], v[67:68], -v[53:54]
	v_mul_f64 v[44:45], v[44:45], v[69:70]
	v_fma_f64 v[67:68], v[46:47], v[67:68], v[44:45]
	s_waitcnt lgkmcnt(6)
	v_mul_f64 v[44:45], v[42:43], v[65:66]
	v_fma_f64 v[69:70], v[40:41], v[63:64], -v[44:45]
	v_mul_f64 v[40:41], v[40:41], v[65:66]
	v_fma_f64 v[63:64], v[42:43], v[63:64], v[40:41]
	v_mul_lo_u16_sdwa v40, v62, s2 dst_sel:DWORD dst_unused:UNUSED_PAD src0_sel:BYTE_0 src1_sel:DWORD
	v_lshrrev_b16_e32 v89, 11, v40
	v_mul_lo_u16_e32 v40, 10, v89
	v_sub_u16_e32 v90, v62, v40
	v_lshlrev_b32_sdwa v65, v79, v90 dst_sel:DWORD dst_unused:UNUSED_PAD src0_sel:DWORD src1_sel:BYTE_0
	global_load_dwordx4 v[40:43], v65, s[12:13] offset:16
	global_load_dwordx4 v[44:47], v65, s[12:13]
	s_waitcnt vmcnt(0) lgkmcnt(4)
	v_mul_f64 v[65:66], v[34:35], v[46:47]
	v_fma_f64 v[65:66], v[32:33], v[44:45], -v[65:66]
	v_mul_f64 v[32:33], v[32:33], v[46:47]
	v_fma_f64 v[44:45], v[34:35], v[44:45], v[32:33]
	s_waitcnt lgkmcnt(3)
	v_mul_f64 v[32:33], v[38:39], v[42:43]
	v_fma_f64 v[46:47], v[36:37], v[40:41], -v[32:33]
	v_mul_f64 v[32:33], v[36:37], v[42:43]
	v_fma_f64 v[40:41], v[38:39], v[40:41], v[32:33]
	v_mul_lo_u16_sdwa v32, v60, s2 dst_sel:DWORD dst_unused:UNUSED_PAD src0_sel:BYTE_0 src1_sel:DWORD
	v_lshrrev_b16_e32 v91, 11, v32
	v_mul_lo_u16_e32 v32, 10, v91
	v_sub_u16_e32 v92, v60, v32
	v_lshlrev_b32_sdwa v42, v79, v92 dst_sel:DWORD dst_unused:UNUSED_PAD src0_sel:DWORD src1_sel:BYTE_0
	global_load_dwordx4 v[32:35], v42, s[12:13] offset:16
	global_load_dwordx4 v[36:39], v42, s[12:13]
	;; [unrolled: 17-line block ×3, first 2 shown]
	s_mov_b32 s2, 0xe8584caa
	s_mov_b32 s3, 0x3febb67a
	;; [unrolled: 1-line block ×3, first 2 shown]
	s_waitcnt vmcnt(0)
	s_barrier
	v_mul_f64 v[33:34], v[18:19], v[31:32]
	v_fma_f64 v[79:80], v[16:17], v[29:30], -v[33:34]
	v_mul_f64 v[16:17], v[16:17], v[31:32]
	v_fma_f64 v[81:82], v[18:19], v[29:30], v[16:17]
	v_mul_f64 v[16:17], v[22:23], v[27:28]
	v_add_f64 v[18:19], v[53:54], v[69:70]
	v_fma_f64 v[83:84], v[20:21], v[25:26], -v[16:17]
	v_mul_f64 v[16:17], v[20:21], v[27:28]
	v_fma_f64 v[85:86], v[22:23], v[25:26], v[16:17]
	v_add_f64 v[16:17], v[12:13], v[53:54]
	v_fma_f64 v[12:13], v[18:19], -0.5, v[12:13]
	v_add_f64 v[18:19], v[67:68], -v[63:64]
	v_add_f64 v[16:17], v[16:17], v[69:70]
	v_fma_f64 v[20:21], v[18:19], s[2:3], v[12:13]
	v_fma_f64 v[25:26], v[18:19], s[6:7], v[12:13]
	v_add_f64 v[12:13], v[14:15], v[67:68]
	v_add_f64 v[18:19], v[12:13], v[63:64]
	;; [unrolled: 1-line block ×3, first 2 shown]
	v_fma_f64 v[12:13], v[12:13], -0.5, v[14:15]
	v_add_f64 v[14:15], v[53:54], -v[69:70]
	v_fma_f64 v[22:23], v[14:15], s[6:7], v[12:13]
	v_fma_f64 v[27:28], v[14:15], s[2:3], v[12:13]
	v_add_f64 v[12:13], v[8:9], v[65:66]
	v_add_f64 v[29:30], v[12:13], v[46:47]
	;; [unrolled: 1-line block ×3, first 2 shown]
	v_fma_f64 v[8:9], v[12:13], -0.5, v[8:9]
	v_add_f64 v[12:13], v[44:45], -v[40:41]
	v_fma_f64 v[33:34], v[12:13], s[2:3], v[8:9]
	v_fma_f64 v[37:38], v[12:13], s[6:7], v[8:9]
	v_add_f64 v[8:9], v[10:11], v[44:45]
	v_add_f64 v[12:13], v[79:80], -v[83:84]
	v_add_f64 v[31:32], v[8:9], v[40:41]
	v_add_f64 v[8:9], v[44:45], v[40:41]
	v_fma_f64 v[8:9], v[8:9], -0.5, v[10:11]
	v_add_f64 v[10:11], v[65:66], -v[46:47]
	v_fma_f64 v[35:36], v[10:11], s[6:7], v[8:9]
	v_fma_f64 v[39:40], v[10:11], s[2:3], v[8:9]
	v_add_f64 v[8:9], v[4:5], v[71:72]
	v_add_f64 v[10:11], v[81:82], v[85:86]
	;; [unrolled: 1-line block ×4, first 2 shown]
	v_fma_f64 v[10:11], v[10:11], -0.5, v[2:3]
	v_fma_f64 v[4:5], v[8:9], -0.5, v[4:5]
	v_add_f64 v[8:9], v[73:74], -v[77:78]
	v_fma_f64 v[63:64], v[8:9], s[2:3], v[4:5]
	v_fma_f64 v[67:68], v[8:9], s[6:7], v[4:5]
	v_add_f64 v[4:5], v[6:7], v[73:74]
	v_add_f64 v[8:9], v[81:82], -v[85:86]
	v_add_f64 v[43:44], v[4:5], v[77:78]
	v_add_f64 v[4:5], v[73:74], v[77:78]
	v_fma_f64 v[4:5], v[4:5], -0.5, v[6:7]
	v_add_f64 v[6:7], v[71:72], -v[75:76]
	v_fma_f64 v[65:66], v[6:7], s[6:7], v[4:5]
	v_fma_f64 v[69:70], v[6:7], s[2:3], v[4:5]
	v_add_f64 v[6:7], v[79:80], v[83:84]
	v_add_f64 v[4:5], v[0:1], v[79:80]
	v_fma_f64 v[6:7], v[6:7], -0.5, v[0:1]
	v_add_f64 v[4:5], v[4:5], v[83:84]
	v_fma_f64 v[0:1], v[8:9], s[2:3], v[6:7]
	v_fma_f64 v[8:9], v[8:9], s[6:7], v[6:7]
	v_add_f64 v[6:7], v[2:3], v[81:82]
	v_fma_f64 v[2:3], v[12:13], s[6:7], v[10:11]
	v_fma_f64 v[10:11], v[12:13], s[2:3], v[10:11]
	s_movk_i32 s2, 0x1e0
	v_mov_b32_e32 v12, 4
	v_mad_u32_u24 v13, v87, s2, 0
	v_lshlrev_b32_sdwa v14, v12, v88 dst_sel:DWORD dst_unused:UNUSED_PAD src0_sel:DWORD src1_sel:BYTE_0
	v_add3_u32 v13, v13, v14, v56
	v_add_f64 v[6:7], v[6:7], v[85:86]
	ds_write_b128 v13, v[16:19]
	ds_write_b128 v13, v[20:23] offset:160
	ds_write_b128 v13, v[25:28] offset:320
	v_mad_u32_u24 v13, v89, s2, 0
	v_lshlrev_b32_sdwa v14, v12, v90 dst_sel:DWORD dst_unused:UNUSED_PAD src0_sel:DWORD src1_sel:BYTE_0
	v_add3_u32 v13, v13, v14, v56
	ds_write_b128 v13, v[29:32]
	ds_write_b128 v13, v[33:36] offset:160
	ds_write_b128 v13, v[37:40] offset:320
	v_mad_u32_u24 v13, v91, s2, 0
	v_lshlrev_b32_sdwa v14, v12, v92 dst_sel:DWORD dst_unused:UNUSED_PAD src0_sel:DWORD src1_sel:BYTE_0
	v_add3_u32 v13, v13, v14, v56
	ds_write_b128 v13, v[41:44]
	ds_write_b128 v13, v[63:66] offset:160
	ds_write_b128 v13, v[67:70] offset:320
	s_and_saveexec_b64 s[2:3], vcc
	s_cbranch_execz .LBB0_23
; %bb.22:
	v_lshlrev_b32_sdwa v12, v12, v24 dst_sel:DWORD dst_unused:UNUSED_PAD src0_sel:DWORD src1_sel:BYTE_0
	v_add3_u32 v12, 0, v12, v56
	ds_write_b128 v12, v[4:7] offset:3840
	ds_write_b128 v12, v[0:3] offset:4000
	;; [unrolled: 1-line block ×3, first 2 shown]
.LBB0_23:
	s_or_b64 exec, exec, s[2:3]
	s_waitcnt lgkmcnt(0)
	s_barrier
	ds_read_b128 v[20:23], v58
	ds_read_b128 v[16:19], v57 offset:432
	ds_read_b128 v[40:43], v57 offset:2880
	;; [unrolled: 1-line block ×8, first 2 shown]
	s_and_saveexec_b64 s[2:3], vcc
	s_cbranch_execz .LBB0_25
; %bb.24:
	ds_read_b128 v[4:7], v57 offset:1296
	ds_read_b128 v[0:3], v57 offset:2736
	;; [unrolled: 1-line block ×3, first 2 shown]
.LBB0_25:
	s_or_b64 exec, exec, s[2:3]
	v_lshlrev_b32_e32 v70, 1, v52
	v_mov_b32_e32 v71, 0
	v_lshlrev_b64 v[53:54], 4, v[70:71]
	v_mov_b32_e32 v76, s13
	v_add_co_u32_e64 v53, s[2:3], s12, v53
	v_addc_co_u32_e64 v54, s[2:3], v76, v54, s[2:3]
	global_load_dwordx4 v[63:66], v[53:54], off offset:336
	global_load_dwordx4 v[67:70], v[53:54], off offset:320
	v_cmp_gt_u32_e64 s[2:3], 3, v52
	v_mov_b32_e32 v82, 5
	s_waitcnt vmcnt(0) lgkmcnt(4)
	v_mul_f64 v[72:73], v[46:47], v[69:70]
	v_fma_f64 v[72:73], v[44:45], v[67:68], -v[72:73]
	v_mul_f64 v[44:45], v[44:45], v[69:70]
	v_fma_f64 v[67:68], v[46:47], v[67:68], v[44:45]
	v_mul_f64 v[44:45], v[42:43], v[65:66]
	v_fma_f64 v[74:75], v[40:41], v[63:64], -v[44:45]
	v_mul_f64 v[40:41], v[40:41], v[65:66]
	v_fma_f64 v[63:64], v[42:43], v[63:64], v[40:41]
	v_add_u32_e32 v40, -3, v52
	v_cndmask_b32_e64 v88, v40, v62, s[2:3]
	v_lshlrev_b32_e32 v70, 1, v88
	v_lshlrev_b64 v[40:41], 4, v[70:71]
	v_add_co_u32_e64 v65, s[2:3], s12, v40
	v_addc_co_u32_e64 v66, s[2:3], v76, v41, s[2:3]
	global_load_dwordx4 v[40:43], v[65:66], off offset:336
	global_load_dwordx4 v[44:47], v[65:66], off offset:320
	s_movk_i32 s2, 0x89
	s_waitcnt vmcnt(0) lgkmcnt(2)
	v_mul_f64 v[65:66], v[38:39], v[46:47]
	v_fma_f64 v[65:66], v[36:37], v[44:45], -v[65:66]
	v_mul_f64 v[36:37], v[36:37], v[46:47]
	v_fma_f64 v[44:45], v[38:39], v[44:45], v[36:37]
	v_mul_f64 v[36:37], v[34:35], v[42:43]
	v_fma_f64 v[46:47], v[32:33], v[40:41], -v[36:37]
	v_mul_f64 v[32:33], v[32:33], v[42:43]
	v_fma_f64 v[40:41], v[34:35], v[40:41], v[32:33]
	v_mul_lo_u16_sdwa v32, v60, s2 dst_sel:DWORD dst_unused:UNUSED_PAD src0_sel:BYTE_0 src1_sel:DWORD
	v_lshrrev_b16_e32 v71, 12, v32
	v_mul_lo_u16_e32 v32, 30, v71
	v_sub_u16_e32 v89, v60, v32
	v_lshlrev_b32_sdwa v42, v82, v89 dst_sel:DWORD dst_unused:UNUSED_PAD src0_sel:DWORD src1_sel:BYTE_0
	global_load_dwordx4 v[32:35], v42, s[12:13] offset:336
	global_load_dwordx4 v[36:39], v42, s[12:13] offset:320
	s_waitcnt vmcnt(0) lgkmcnt(1)
	v_mul_f64 v[42:43], v[30:31], v[38:39]
	v_fma_f64 v[69:70], v[28:29], v[36:37], -v[42:43]
	v_mul_f64 v[28:29], v[28:29], v[38:39]
	v_fma_f64 v[76:77], v[30:31], v[36:37], v[28:29]
	s_waitcnt lgkmcnt(0)
	v_mul_f64 v[28:29], v[26:27], v[34:35]
	v_fma_f64 v[78:79], v[24:25], v[32:33], -v[28:29]
	v_mul_f64 v[24:25], v[24:25], v[34:35]
	v_fma_f64 v[80:81], v[26:27], v[32:33], v[24:25]
	v_mul_lo_u16_sdwa v24, v59, s2 dst_sel:DWORD dst_unused:UNUSED_PAD src0_sel:BYTE_0 src1_sel:DWORD
	v_lshrrev_b16_e32 v24, 12, v24
	v_mul_lo_u16_e32 v24, 30, v24
	v_sub_u16_e32 v24, v59, v24
	v_lshlrev_b32_sdwa v33, v82, v24 dst_sel:DWORD dst_unused:UNUSED_PAD src0_sel:DWORD src1_sel:BYTE_0
	global_load_dwordx4 v[25:28], v33, s[12:13] offset:336
	global_load_dwordx4 v[29:32], v33, s[12:13] offset:320
	s_mov_b32 s2, 0xe8584caa
	s_mov_b32 s3, 0x3febb67a
	;; [unrolled: 1-line block ×3, first 2 shown]
	s_waitcnt vmcnt(0)
	s_barrier
	v_mul_f64 v[33:34], v[2:3], v[31:32]
	v_fma_f64 v[82:83], v[0:1], v[29:30], -v[33:34]
	v_mul_f64 v[0:1], v[0:1], v[31:32]
	v_fma_f64 v[84:85], v[2:3], v[29:30], v[0:1]
	v_mul_f64 v[0:1], v[10:11], v[27:28]
	v_add_f64 v[2:3], v[67:68], -v[63:64]
	v_fma_f64 v[86:87], v[8:9], v[25:26], -v[0:1]
	v_mul_f64 v[0:1], v[8:9], v[27:28]
	v_fma_f64 v[10:11], v[10:11], v[25:26], v[0:1]
	v_add_f64 v[0:1], v[20:21], v[72:73]
	v_add_f64 v[8:9], v[84:85], -v[10:11]
	v_add_f64 v[25:26], v[0:1], v[74:75]
	v_add_f64 v[0:1], v[72:73], v[74:75]
	v_fma_f64 v[0:1], v[0:1], -0.5, v[20:21]
	v_fma_f64 v[20:21], v[2:3], s[2:3], v[0:1]
	v_fma_f64 v[29:30], v[2:3], s[6:7], v[0:1]
	v_add_f64 v[0:1], v[22:23], v[67:68]
	v_add_f64 v[2:3], v[72:73], -v[74:75]
	v_add_f64 v[27:28], v[0:1], v[63:64]
	v_add_f64 v[0:1], v[67:68], v[63:64]
	v_fma_f64 v[0:1], v[0:1], -0.5, v[22:23]
	v_fma_f64 v[22:23], v[2:3], s[6:7], v[0:1]
	v_fma_f64 v[31:32], v[2:3], s[2:3], v[0:1]
	v_add_f64 v[0:1], v[16:17], v[65:66]
	v_add_f64 v[2:3], v[44:45], -v[40:41]
	ds_write_b128 v57, v[25:28]
	ds_write_b128 v57, v[20:23] offset:480
	ds_write_b128 v57, v[29:32] offset:960
	v_add_f64 v[33:34], v[0:1], v[46:47]
	v_add_f64 v[0:1], v[65:66], v[46:47]
	v_fma_f64 v[0:1], v[0:1], -0.5, v[16:17]
	v_fma_f64 v[16:17], v[2:3], s[2:3], v[0:1]
	v_fma_f64 v[37:38], v[2:3], s[6:7], v[0:1]
	v_add_f64 v[0:1], v[18:19], v[44:45]
	v_add_f64 v[2:3], v[65:66], -v[46:47]
	v_add_f64 v[35:36], v[0:1], v[40:41]
	v_add_f64 v[0:1], v[44:45], v[40:41]
	v_fma_f64 v[0:1], v[0:1], -0.5, v[18:19]
	v_fma_f64 v[18:19], v[2:3], s[6:7], v[0:1]
	v_fma_f64 v[39:40], v[2:3], s[2:3], v[0:1]
	v_add_f64 v[0:1], v[12:13], v[69:70]
	v_add_f64 v[2:3], v[76:77], -v[80:81]
	v_add_f64 v[41:42], v[0:1], v[78:79]
	v_add_f64 v[0:1], v[69:70], v[78:79]
	v_fma_f64 v[0:1], v[0:1], -0.5, v[12:13]
	v_add_f64 v[12:13], v[82:83], -v[86:87]
	v_fma_f64 v[63:64], v[2:3], s[2:3], v[0:1]
	v_fma_f64 v[67:68], v[2:3], s[6:7], v[0:1]
	v_add_f64 v[0:1], v[14:15], v[76:77]
	v_add_f64 v[2:3], v[69:70], -v[78:79]
	v_add_f64 v[43:44], v[0:1], v[80:81]
	v_add_f64 v[0:1], v[76:77], v[80:81]
	v_fma_f64 v[0:1], v[0:1], -0.5, v[14:15]
	v_fma_f64 v[65:66], v[2:3], s[6:7], v[0:1]
	v_fma_f64 v[69:70], v[2:3], s[2:3], v[0:1]
	v_add_f64 v[2:3], v[82:83], v[86:87]
	v_add_f64 v[0:1], v[4:5], v[82:83]
	v_fma_f64 v[2:3], v[2:3], -0.5, v[4:5]
	v_add_f64 v[0:1], v[0:1], v[86:87]
	v_fma_f64 v[4:5], v[8:9], s[2:3], v[2:3]
	v_fma_f64 v[8:9], v[8:9], s[6:7], v[2:3]
	v_add_f64 v[2:3], v[6:7], v[84:85]
	v_add_f64 v[2:3], v[2:3], v[10:11]
	;; [unrolled: 1-line block ×3, first 2 shown]
	v_fma_f64 v[10:11], v[10:11], -0.5, v[6:7]
	v_fma_f64 v[6:7], v[12:13], s[6:7], v[10:11]
	v_fma_f64 v[10:11], v[12:13], s[2:3], v[10:11]
	v_cmp_lt_u32_e64 s[2:3], 2, v52
	v_mov_b32_e32 v12, 0x5a0
	v_cndmask_b32_e64 v12, 0, v12, s[2:3]
	v_add_u32_e32 v12, 0, v12
	v_lshlrev_b32_e32 v13, 4, v88
	v_add3_u32 v12, v12, v13, v56
	s_movk_i32 s6, 0x5a0
	ds_write_b128 v12, v[33:36]
	ds_write_b128 v12, v[16:19] offset:480
	ds_write_b128 v12, v[37:40] offset:960
	v_mov_b32_e32 v12, 4
	v_mad_u32_u24 v13, v71, s6, 0
	v_lshlrev_b32_sdwa v14, v12, v89 dst_sel:DWORD dst_unused:UNUSED_PAD src0_sel:DWORD src1_sel:BYTE_0
	v_add3_u32 v13, v13, v14, v56
	ds_write_b128 v13, v[41:44]
	ds_write_b128 v13, v[63:66] offset:480
	ds_write_b128 v13, v[67:70] offset:960
	s_and_saveexec_b64 s[2:3], vcc
	s_cbranch_execz .LBB0_27
; %bb.26:
	v_lshlrev_b32_sdwa v12, v12, v24 dst_sel:DWORD dst_unused:UNUSED_PAD src0_sel:DWORD src1_sel:BYTE_0
	v_add3_u32 v12, 0, v12, v56
	ds_write_b128 v12, v[0:3] offset:2880
	ds_write_b128 v12, v[4:7] offset:3360
	;; [unrolled: 1-line block ×3, first 2 shown]
.LBB0_27:
	s_or_b64 exec, exec, s[2:3]
	s_waitcnt lgkmcnt(0)
	s_barrier
	ds_read_b128 v[20:23], v58
	ds_read_b128 v[16:19], v57 offset:432
	ds_read_b128 v[40:43], v57 offset:2880
	;; [unrolled: 1-line block ×8, first 2 shown]
	s_and_saveexec_b64 s[2:3], vcc
	s_cbranch_execz .LBB0_29
; %bb.28:
	ds_read_b128 v[0:3], v57 offset:1296
	ds_read_b128 v[4:7], v57 offset:2736
	ds_read_b128 v[8:11], v57 offset:4176
.LBB0_29:
	s_or_b64 exec, exec, s[2:3]
	global_load_dwordx4 v[63:66], v[53:54], off offset:1296
	global_load_dwordx4 v[67:70], v[53:54], off offset:1280
	v_mul_i32_i24_e32 v58, 0xffffff70, v52
	v_add3_u32 v56, v61, v58, v56
	v_mov_b32_e32 v58, s13
	s_waitcnt vmcnt(0) lgkmcnt(4)
	v_mul_f64 v[53:54], v[46:47], v[69:70]
	v_fma_f64 v[53:54], v[44:45], v[67:68], -v[53:54]
	v_mul_f64 v[44:45], v[44:45], v[69:70]
	v_fma_f64 v[46:47], v[46:47], v[67:68], v[44:45]
	v_mul_f64 v[44:45], v[42:43], v[65:66]
	v_fma_f64 v[67:68], v[40:41], v[63:64], -v[44:45]
	v_mul_f64 v[40:41], v[40:41], v[65:66]
	v_fma_f64 v[65:66], v[42:43], v[63:64], v[40:41]
	v_lshlrev_b32_e32 v40, 1, v62
	v_mov_b32_e32 v41, 0
	v_lshlrev_b64 v[42:43], 4, v[40:41]
	v_lshlrev_b32_e32 v40, 1, v60
	v_add_co_u32_e64 v69, s[2:3], s12, v42
	v_addc_co_u32_e64 v70, s[2:3], v58, v43, s[2:3]
	global_load_dwordx4 v[42:45], v[69:70], off offset:1296
	global_load_dwordx4 v[61:64], v[69:70], off offset:1280
	s_waitcnt vmcnt(0) lgkmcnt(2)
	v_mul_f64 v[69:70], v[38:39], v[63:64]
	v_fma_f64 v[69:70], v[36:37], v[61:62], -v[69:70]
	v_mul_f64 v[36:37], v[36:37], v[63:64]
	v_fma_f64 v[61:62], v[38:39], v[61:62], v[36:37]
	v_mul_f64 v[36:37], v[34:35], v[44:45]
	v_fma_f64 v[63:64], v[32:33], v[42:43], -v[36:37]
	v_mul_f64 v[32:33], v[32:33], v[44:45]
	v_fma_f64 v[42:43], v[34:35], v[42:43], v[32:33]
	v_lshlrev_b64 v[32:33], 4, v[40:41]
	v_add_co_u32_e64 v44, s[2:3], s12, v32
	v_addc_co_u32_e64 v45, s[2:3], v58, v33, s[2:3]
	global_load_dwordx4 v[32:35], v[44:45], off offset:1296
	global_load_dwordx4 v[36:39], v[44:45], off offset:1280
	s_mov_b32 s2, 0xe8584caa
	s_mov_b32 s3, 0x3febb67a
	;; [unrolled: 1-line block ×3, first 2 shown]
	s_waitcnt vmcnt(0) lgkmcnt(0)
	s_barrier
	v_mul_f64 v[44:45], v[30:31], v[38:39]
	v_fma_f64 v[44:45], v[28:29], v[36:37], -v[44:45]
	v_mul_f64 v[28:29], v[28:29], v[38:39]
	v_fma_f64 v[36:37], v[30:31], v[36:37], v[28:29]
	v_mul_f64 v[28:29], v[26:27], v[34:35]
	v_add_f64 v[30:31], v[46:47], v[65:66]
	v_fma_f64 v[38:39], v[24:25], v[32:33], -v[28:29]
	v_mul_f64 v[24:25], v[24:25], v[34:35]
	v_add_f64 v[28:29], v[46:47], -v[65:66]
	v_fma_f64 v[30:31], v[30:31], -0.5, v[22:23]
	v_add_f64 v[34:35], v[69:70], v[63:64]
	v_fma_f64 v[71:72], v[26:27], v[32:33], v[24:25]
	v_add_f64 v[26:27], v[53:54], v[67:68]
	v_add_f64 v[32:33], v[53:54], -v[67:68]
	v_add_f64 v[24:25], v[20:21], v[53:54]
	v_fma_f64 v[26:27], v[26:27], -0.5, v[20:21]
	v_add_f64 v[24:25], v[24:25], v[67:68]
	v_fma_f64 v[20:21], v[28:29], s[2:3], v[26:27]
	v_fma_f64 v[28:29], v[28:29], s[6:7], v[26:27]
	v_add_f64 v[26:27], v[22:23], v[46:47]
	v_fma_f64 v[22:23], v[32:33], s[6:7], v[30:31]
	v_fma_f64 v[30:31], v[32:33], s[2:3], v[30:31]
	v_add_f64 v[32:33], v[16:17], v[69:70]
	v_fma_f64 v[16:17], v[34:35], -0.5, v[16:17]
	v_add_f64 v[34:35], v[61:62], -v[42:43]
	v_add_f64 v[26:27], v[26:27], v[65:66]
	v_add_f64 v[32:33], v[32:33], v[63:64]
	v_fma_f64 v[46:47], v[34:35], s[2:3], v[16:17]
	v_fma_f64 v[53:54], v[34:35], s[6:7], v[16:17]
	v_add_f64 v[16:17], v[18:19], v[61:62]
	v_add_f64 v[34:35], v[16:17], v[42:43]
	;; [unrolled: 1-line block ×3, first 2 shown]
	v_fma_f64 v[16:17], v[16:17], -0.5, v[18:19]
	v_add_f64 v[18:19], v[69:70], -v[63:64]
	v_fma_f64 v[42:43], v[18:19], s[6:7], v[16:17]
	v_fma_f64 v[60:61], v[18:19], s[2:3], v[16:17]
	v_add_f64 v[18:19], v[44:45], v[38:39]
	v_add_f64 v[16:17], v[12:13], v[44:45]
	ds_write_b128 v57, v[24:27]
	ds_write_b128 v57, v[20:23] offset:1440
	ds_write_b128 v57, v[28:31] offset:2880
	ds_write_b128 v57, v[32:35] offset:432
	ds_write2_b64 v56, v[46:47], v[42:43] offset0:234 offset1:235
	v_add_u32_e32 v20, 0x800, v56
	v_fma_f64 v[12:13], v[18:19], -0.5, v[12:13]
	v_add_f64 v[18:19], v[36:37], -v[71:72]
	v_add_f64 v[16:17], v[16:17], v[38:39]
	v_fma_f64 v[62:63], v[18:19], s[2:3], v[12:13]
	v_fma_f64 v[12:13], v[18:19], s[6:7], v[12:13]
	v_add_f64 v[18:19], v[14:15], v[36:37]
	v_add_f64 v[36:37], v[36:37], v[71:72]
	;; [unrolled: 1-line block ×3, first 2 shown]
	v_fma_f64 v[14:15], v[36:37], -0.5, v[14:15]
	v_add_f64 v[36:37], v[44:45], -v[38:39]
	v_fma_f64 v[38:39], v[36:37], s[6:7], v[14:15]
	v_fma_f64 v[14:15], v[36:37], s[2:3], v[14:15]
	ds_write2_b64 v20, v[53:54], v[60:61] offset0:158 offset1:159
	ds_write_b128 v57, v[16:19] offset:864
	ds_write2_b64 v20, v[62:63], v[38:39] offset0:32 offset1:33
	ds_write2_b64 v20, v[12:13], v[14:15] offset0:212 offset1:213
	s_and_saveexec_b64 s[8:9], vcc
	s_cbranch_execz .LBB0_31
; %bb.30:
	v_add_u32_e32 v12, -9, v52
	v_cndmask_b32_e32 v12, v12, v59, vcc
	v_lshlrev_b32_e32 v40, 1, v12
	v_lshlrev_b64 v[12:13], 4, v[40:41]
	v_mov_b32_e32 v14, s13
	v_add_co_u32_e32 v20, vcc, s12, v12
	v_addc_co_u32_e32 v21, vcc, v14, v13, vcc
	global_load_dwordx4 v[12:15], v[20:21], off offset:1280
	global_load_dwordx4 v[16:19], v[20:21], off offset:1296
	s_waitcnt vmcnt(1)
	v_mul_f64 v[20:21], v[4:5], v[14:15]
	s_waitcnt vmcnt(0)
	v_mul_f64 v[22:23], v[8:9], v[18:19]
	v_mul_f64 v[14:15], v[6:7], v[14:15]
	v_mul_f64 v[18:19], v[10:11], v[18:19]
	v_fma_f64 v[6:7], v[6:7], v[12:13], v[20:21]
	v_fma_f64 v[10:11], v[10:11], v[16:17], v[22:23]
	v_fma_f64 v[4:5], v[4:5], v[12:13], -v[14:15]
	v_fma_f64 v[8:9], v[8:9], v[16:17], -v[18:19]
	v_add_f64 v[18:19], v[2:3], v[6:7]
	v_add_f64 v[12:13], v[6:7], v[10:11]
	v_add_f64 v[20:21], v[6:7], -v[10:11]
	v_add_f64 v[14:15], v[4:5], v[8:9]
	v_add_f64 v[16:17], v[4:5], -v[8:9]
	v_add_f64 v[4:5], v[0:1], v[4:5]
	v_fma_f64 v[12:13], v[12:13], -0.5, v[2:3]
	v_add_f64 v[2:3], v[18:19], v[10:11]
	v_fma_f64 v[14:15], v[14:15], -0.5, v[0:1]
	v_add_f64 v[0:1], v[4:5], v[8:9]
	v_fma_f64 v[10:11], v[16:17], s[6:7], v[12:13]
	v_fma_f64 v[6:7], v[16:17], s[2:3], v[12:13]
	;; [unrolled: 1-line block ×4, first 2 shown]
	ds_write_b128 v57, v[0:3] offset:1296
	ds_write_b128 v57, v[8:11] offset:2736
	;; [unrolled: 1-line block ×3, first 2 shown]
.LBB0_31:
	s_or_b64 exec, exec, s[8:9]
	s_waitcnt lgkmcnt(0)
	s_barrier
	s_and_saveexec_b64 s[2:3], s[0:1]
	s_cbranch_execz .LBB0_33
; %bb.32:
	v_mul_lo_u32 v0, s5, v50
	v_mul_lo_u32 v1, s4, v51
	v_mad_u64_u32 v[4:5], s[0:1], s4, v50, 0
	v_mov_b32_e32 v6, s11
	v_lshl_add_u32 v10, v52, 4, v55
	v_add3_u32 v5, v5, v1, v0
	v_lshlrev_b64 v[4:5], 4, v[4:5]
	v_mov_b32_e32 v53, 0
	v_add_co_u32_e32 v7, vcc, s10, v4
	v_addc_co_u32_e32 v6, vcc, v6, v5, vcc
	v_lshlrev_b64 v[4:5], 4, v[48:49]
	ds_read_b128 v[0:3], v10
	v_add_co_u32_e32 v11, vcc, v7, v4
	v_addc_co_u32_e32 v12, vcc, v6, v5, vcc
	v_lshlrev_b64 v[4:5], 4, v[52:53]
	v_add_co_u32_e32 v8, vcc, v11, v4
	v_addc_co_u32_e32 v9, vcc, v12, v5, vcc
	ds_read_b128 v[4:7], v10 offset:432
	s_waitcnt lgkmcnt(1)
	global_store_dwordx4 v[8:9], v[0:3], off
	s_nop 0
	v_add_u32_e32 v0, 27, v52
	v_mov_b32_e32 v1, v53
	v_lshlrev_b64 v[0:1], 4, v[0:1]
	v_add_co_u32_e32 v0, vcc, v11, v0
	v_addc_co_u32_e32 v1, vcc, v12, v1, vcc
	s_waitcnt lgkmcnt(0)
	global_store_dwordx4 v[0:1], v[4:7], off
	ds_read_b128 v[0:3], v10 offset:864
	v_add_u32_e32 v4, 54, v52
	v_mov_b32_e32 v5, v53
	v_lshlrev_b64 v[4:5], 4, v[4:5]
	v_add_co_u32_e32 v8, vcc, v11, v4
	v_addc_co_u32_e32 v9, vcc, v12, v5, vcc
	ds_read_b128 v[4:7], v10 offset:1296
	s_waitcnt lgkmcnt(1)
	global_store_dwordx4 v[8:9], v[0:3], off
	s_nop 0
	v_add_u32_e32 v0, 0x51, v52
	v_mov_b32_e32 v1, v53
	v_lshlrev_b64 v[0:1], 4, v[0:1]
	v_add_co_u32_e32 v0, vcc, v11, v0
	v_addc_co_u32_e32 v1, vcc, v12, v1, vcc
	s_waitcnt lgkmcnt(0)
	global_store_dwordx4 v[0:1], v[4:7], off
	ds_read_b128 v[0:3], v10 offset:1728
	v_add_u32_e32 v4, 0x6c, v52
	v_mov_b32_e32 v5, v53
	;; [unrolled: 17-line block ×4, first 2 shown]
	v_lshlrev_b64 v[4:5], 4, v[4:5]
	v_add_u32_e32 v52, 0xf3, v52
	v_add_co_u32_e32 v8, vcc, v11, v4
	v_addc_co_u32_e32 v9, vcc, v12, v5, vcc
	ds_read_b128 v[4:7], v10 offset:3888
	s_waitcnt lgkmcnt(1)
	global_store_dwordx4 v[8:9], v[0:3], off
	s_nop 0
	v_lshlrev_b64 v[0:1], 4, v[52:53]
	v_add_co_u32_e32 v0, vcc, v11, v0
	v_addc_co_u32_e32 v1, vcc, v12, v1, vcc
	s_waitcnt lgkmcnt(0)
	global_store_dwordx4 v[0:1], v[4:7], off
.LBB0_33:
	s_endpgm
	.section	.rodata,"a",@progbits
	.p2align	6, 0x0
	.amdhsa_kernel fft_rtc_fwd_len270_factors_10_3_3_3_wgs_108_tpt_27_halfLds_dp_op_CI_CI_unitstride_sbrr_C2R_dirReg
		.amdhsa_group_segment_fixed_size 0
		.amdhsa_private_segment_fixed_size 0
		.amdhsa_kernarg_size 104
		.amdhsa_user_sgpr_count 6
		.amdhsa_user_sgpr_private_segment_buffer 1
		.amdhsa_user_sgpr_dispatch_ptr 0
		.amdhsa_user_sgpr_queue_ptr 0
		.amdhsa_user_sgpr_kernarg_segment_ptr 1
		.amdhsa_user_sgpr_dispatch_id 0
		.amdhsa_user_sgpr_flat_scratch_init 0
		.amdhsa_user_sgpr_private_segment_size 0
		.amdhsa_uses_dynamic_stack 0
		.amdhsa_system_sgpr_private_segment_wavefront_offset 0
		.amdhsa_system_sgpr_workgroup_id_x 1
		.amdhsa_system_sgpr_workgroup_id_y 0
		.amdhsa_system_sgpr_workgroup_id_z 0
		.amdhsa_system_sgpr_workgroup_info 0
		.amdhsa_system_vgpr_workitem_id 0
		.amdhsa_next_free_vgpr 93
		.amdhsa_next_free_sgpr 28
		.amdhsa_reserve_vcc 1
		.amdhsa_reserve_flat_scratch 0
		.amdhsa_float_round_mode_32 0
		.amdhsa_float_round_mode_16_64 0
		.amdhsa_float_denorm_mode_32 3
		.amdhsa_float_denorm_mode_16_64 3
		.amdhsa_dx10_clamp 1
		.amdhsa_ieee_mode 1
		.amdhsa_fp16_overflow 0
		.amdhsa_exception_fp_ieee_invalid_op 0
		.amdhsa_exception_fp_denorm_src 0
		.amdhsa_exception_fp_ieee_div_zero 0
		.amdhsa_exception_fp_ieee_overflow 0
		.amdhsa_exception_fp_ieee_underflow 0
		.amdhsa_exception_fp_ieee_inexact 0
		.amdhsa_exception_int_div_zero 0
	.end_amdhsa_kernel
	.text
.Lfunc_end0:
	.size	fft_rtc_fwd_len270_factors_10_3_3_3_wgs_108_tpt_27_halfLds_dp_op_CI_CI_unitstride_sbrr_C2R_dirReg, .Lfunc_end0-fft_rtc_fwd_len270_factors_10_3_3_3_wgs_108_tpt_27_halfLds_dp_op_CI_CI_unitstride_sbrr_C2R_dirReg
                                        ; -- End function
	.section	.AMDGPU.csdata,"",@progbits
; Kernel info:
; codeLenInByte = 8276
; NumSgprs: 32
; NumVgprs: 93
; ScratchSize: 0
; MemoryBound: 0
; FloatMode: 240
; IeeeMode: 1
; LDSByteSize: 0 bytes/workgroup (compile time only)
; SGPRBlocks: 3
; VGPRBlocks: 23
; NumSGPRsForWavesPerEU: 32
; NumVGPRsForWavesPerEU: 93
; Occupancy: 2
; WaveLimiterHint : 1
; COMPUTE_PGM_RSRC2:SCRATCH_EN: 0
; COMPUTE_PGM_RSRC2:USER_SGPR: 6
; COMPUTE_PGM_RSRC2:TRAP_HANDLER: 0
; COMPUTE_PGM_RSRC2:TGID_X_EN: 1
; COMPUTE_PGM_RSRC2:TGID_Y_EN: 0
; COMPUTE_PGM_RSRC2:TGID_Z_EN: 0
; COMPUTE_PGM_RSRC2:TIDIG_COMP_CNT: 0
	.type	__hip_cuid_c11e14fc1ab8c851,@object ; @__hip_cuid_c11e14fc1ab8c851
	.section	.bss,"aw",@nobits
	.globl	__hip_cuid_c11e14fc1ab8c851
__hip_cuid_c11e14fc1ab8c851:
	.byte	0                               ; 0x0
	.size	__hip_cuid_c11e14fc1ab8c851, 1

	.ident	"AMD clang version 19.0.0git (https://github.com/RadeonOpenCompute/llvm-project roc-6.4.0 25133 c7fe45cf4b819c5991fe208aaa96edf142730f1d)"
	.section	".note.GNU-stack","",@progbits
	.addrsig
	.addrsig_sym __hip_cuid_c11e14fc1ab8c851
	.amdgpu_metadata
---
amdhsa.kernels:
  - .args:
      - .actual_access:  read_only
        .address_space:  global
        .offset:         0
        .size:           8
        .value_kind:     global_buffer
      - .offset:         8
        .size:           8
        .value_kind:     by_value
      - .actual_access:  read_only
        .address_space:  global
        .offset:         16
        .size:           8
        .value_kind:     global_buffer
      - .actual_access:  read_only
        .address_space:  global
        .offset:         24
        .size:           8
        .value_kind:     global_buffer
      - .actual_access:  read_only
        .address_space:  global
        .offset:         32
        .size:           8
        .value_kind:     global_buffer
      - .offset:         40
        .size:           8
        .value_kind:     by_value
      - .actual_access:  read_only
        .address_space:  global
        .offset:         48
        .size:           8
        .value_kind:     global_buffer
      - .actual_access:  read_only
        .address_space:  global
        .offset:         56
        .size:           8
        .value_kind:     global_buffer
      - .offset:         64
        .size:           4
        .value_kind:     by_value
      - .actual_access:  read_only
        .address_space:  global
        .offset:         72
        .size:           8
        .value_kind:     global_buffer
      - .actual_access:  read_only
        .address_space:  global
        .offset:         80
        .size:           8
        .value_kind:     global_buffer
      - .actual_access:  read_only
        .address_space:  global
        .offset:         88
        .size:           8
        .value_kind:     global_buffer
      - .actual_access:  write_only
        .address_space:  global
        .offset:         96
        .size:           8
        .value_kind:     global_buffer
    .group_segment_fixed_size: 0
    .kernarg_segment_align: 8
    .kernarg_segment_size: 104
    .language:       OpenCL C
    .language_version:
      - 2
      - 0
    .max_flat_workgroup_size: 108
    .name:           fft_rtc_fwd_len270_factors_10_3_3_3_wgs_108_tpt_27_halfLds_dp_op_CI_CI_unitstride_sbrr_C2R_dirReg
    .private_segment_fixed_size: 0
    .sgpr_count:     32
    .sgpr_spill_count: 0
    .symbol:         fft_rtc_fwd_len270_factors_10_3_3_3_wgs_108_tpt_27_halfLds_dp_op_CI_CI_unitstride_sbrr_C2R_dirReg.kd
    .uniform_work_group_size: 1
    .uses_dynamic_stack: false
    .vgpr_count:     93
    .vgpr_spill_count: 0
    .wavefront_size: 64
amdhsa.target:   amdgcn-amd-amdhsa--gfx906
amdhsa.version:
  - 1
  - 2
...

	.end_amdgpu_metadata
